;; amdgpu-corpus repo=ROCm/rocFFT kind=compiled arch=gfx906 opt=O3
	.text
	.amdgcn_target "amdgcn-amd-amdhsa--gfx906"
	.amdhsa_code_object_version 6
	.protected	fft_rtc_back_len429_factors_13_3_11_wgs_117_tpt_39_half_ip_CI_unitstride_sbrr_dirReg ; -- Begin function fft_rtc_back_len429_factors_13_3_11_wgs_117_tpt_39_half_ip_CI_unitstride_sbrr_dirReg
	.globl	fft_rtc_back_len429_factors_13_3_11_wgs_117_tpt_39_half_ip_CI_unitstride_sbrr_dirReg
	.p2align	8
	.type	fft_rtc_back_len429_factors_13_3_11_wgs_117_tpt_39_half_ip_CI_unitstride_sbrr_dirReg,@function
fft_rtc_back_len429_factors_13_3_11_wgs_117_tpt_39_half_ip_CI_unitstride_sbrr_dirReg: ; @fft_rtc_back_len429_factors_13_3_11_wgs_117_tpt_39_half_ip_CI_unitstride_sbrr_dirReg
; %bb.0:
	v_mul_u32_u24_e32 v1, 0x691, v0
	s_load_dwordx2 s[2:3], s[4:5], 0x50
	s_load_dwordx4 s[8:11], s[4:5], 0x0
	s_load_dwordx2 s[12:13], s[4:5], 0x18
	v_lshrrev_b32_e32 v1, 16, v1
	v_mad_u64_u32 v[6:7], s[0:1], s6, 3, v[1:2]
	v_mov_b32_e32 v3, 0
	s_waitcnt lgkmcnt(0)
	v_cmp_lt_u64_e64 s[0:1], s[10:11], 2
	v_mov_b32_e32 v7, v3
	v_mov_b32_e32 v1, 0
	;; [unrolled: 1-line block ×3, first 2 shown]
	s_and_b64 vcc, exec, s[0:1]
	v_mov_b32_e32 v2, 0
	v_mov_b32_e32 v5, v7
	s_cbranch_vccnz .LBB0_8
; %bb.1:
	s_load_dwordx2 s[0:1], s[4:5], 0x10
	s_add_u32 s6, s12, 8
	s_addc_u32 s7, s13, 0
	v_mov_b32_e32 v1, 0
	v_mov_b32_e32 v8, v7
	s_waitcnt lgkmcnt(0)
	s_add_u32 s16, s0, 8
	s_mov_b64 s[14:15], 1
	v_mov_b32_e32 v2, 0
	s_addc_u32 s17, s1, 0
	v_mov_b32_e32 v7, v6
.LBB0_2:                                ; =>This Inner Loop Header: Depth=1
	s_load_dwordx2 s[18:19], s[16:17], 0x0
	s_waitcnt lgkmcnt(0)
	v_or_b32_e32 v4, s19, v8
	v_cmp_ne_u64_e32 vcc, 0, v[3:4]
                                        ; implicit-def: $vgpr4_vgpr5
	s_and_saveexec_b64 s[0:1], vcc
	s_xor_b64 s[20:21], exec, s[0:1]
	s_cbranch_execz .LBB0_4
; %bb.3:                                ;   in Loop: Header=BB0_2 Depth=1
	v_cvt_f32_u32_e32 v4, s18
	v_cvt_f32_u32_e32 v5, s19
	s_sub_u32 s0, 0, s18
	s_subb_u32 s1, 0, s19
	v_mac_f32_e32 v4, 0x4f800000, v5
	v_rcp_f32_e32 v4, v4
	v_mul_f32_e32 v4, 0x5f7ffffc, v4
	v_mul_f32_e32 v5, 0x2f800000, v4
	v_trunc_f32_e32 v5, v5
	v_mac_f32_e32 v4, 0xcf800000, v5
	v_cvt_u32_f32_e32 v5, v5
	v_cvt_u32_f32_e32 v4, v4
	v_mul_lo_u32 v9, s0, v5
	v_mul_hi_u32 v10, s0, v4
	v_mul_lo_u32 v12, s1, v4
	v_mul_lo_u32 v11, s0, v4
	v_add_u32_e32 v9, v10, v9
	v_add_u32_e32 v9, v9, v12
	v_mul_hi_u32 v10, v4, v11
	v_mul_lo_u32 v12, v4, v9
	v_mul_hi_u32 v14, v4, v9
	v_mul_hi_u32 v13, v5, v11
	v_mul_lo_u32 v11, v5, v11
	v_mul_hi_u32 v15, v5, v9
	v_add_co_u32_e32 v10, vcc, v10, v12
	v_addc_co_u32_e32 v12, vcc, 0, v14, vcc
	v_mul_lo_u32 v9, v5, v9
	v_add_co_u32_e32 v10, vcc, v10, v11
	v_addc_co_u32_e32 v10, vcc, v12, v13, vcc
	v_addc_co_u32_e32 v11, vcc, 0, v15, vcc
	v_add_co_u32_e32 v9, vcc, v10, v9
	v_addc_co_u32_e32 v10, vcc, 0, v11, vcc
	v_add_co_u32_e32 v4, vcc, v4, v9
	v_addc_co_u32_e32 v5, vcc, v5, v10, vcc
	v_mul_lo_u32 v9, s0, v5
	v_mul_hi_u32 v10, s0, v4
	v_mul_lo_u32 v11, s1, v4
	v_mul_lo_u32 v12, s0, v4
	v_add_u32_e32 v9, v10, v9
	v_add_u32_e32 v9, v9, v11
	v_mul_lo_u32 v13, v4, v9
	v_mul_hi_u32 v14, v4, v12
	v_mul_hi_u32 v15, v4, v9
	;; [unrolled: 1-line block ×3, first 2 shown]
	v_mul_lo_u32 v12, v5, v12
	v_mul_hi_u32 v10, v5, v9
	v_add_co_u32_e32 v13, vcc, v14, v13
	v_addc_co_u32_e32 v14, vcc, 0, v15, vcc
	v_mul_lo_u32 v9, v5, v9
	v_add_co_u32_e32 v12, vcc, v13, v12
	v_addc_co_u32_e32 v11, vcc, v14, v11, vcc
	v_addc_co_u32_e32 v10, vcc, 0, v10, vcc
	v_add_co_u32_e32 v9, vcc, v11, v9
	v_addc_co_u32_e32 v10, vcc, 0, v10, vcc
	v_add_co_u32_e32 v9, vcc, v4, v9
	v_addc_co_u32_e32 v10, vcc, v5, v10, vcc
	v_mad_u64_u32 v[4:5], s[0:1], v7, v10, 0
	v_mul_hi_u32 v11, v7, v9
	v_add_co_u32_e32 v11, vcc, v11, v4
	v_addc_co_u32_e32 v12, vcc, 0, v5, vcc
	v_mad_u64_u32 v[4:5], s[0:1], v8, v9, 0
	v_mad_u64_u32 v[9:10], s[0:1], v8, v10, 0
	v_add_co_u32_e32 v4, vcc, v11, v4
	v_addc_co_u32_e32 v4, vcc, v12, v5, vcc
	v_addc_co_u32_e32 v5, vcc, 0, v10, vcc
	v_add_co_u32_e32 v9, vcc, v4, v9
	v_addc_co_u32_e32 v10, vcc, 0, v5, vcc
	v_mul_lo_u32 v11, s19, v9
	v_mul_lo_u32 v12, s18, v10
	v_mad_u64_u32 v[4:5], s[0:1], s18, v9, 0
	v_add3_u32 v5, v5, v12, v11
	v_sub_u32_e32 v11, v8, v5
	v_mov_b32_e32 v12, s19
	v_sub_co_u32_e32 v4, vcc, v7, v4
	v_subb_co_u32_e64 v11, s[0:1], v11, v12, vcc
	v_subrev_co_u32_e64 v12, s[0:1], s18, v4
	v_subbrev_co_u32_e64 v11, s[0:1], 0, v11, s[0:1]
	v_cmp_le_u32_e64 s[0:1], s19, v11
	v_cndmask_b32_e64 v13, 0, -1, s[0:1]
	v_cmp_le_u32_e64 s[0:1], s18, v12
	v_cndmask_b32_e64 v12, 0, -1, s[0:1]
	v_cmp_eq_u32_e64 s[0:1], s19, v11
	v_cndmask_b32_e64 v11, v13, v12, s[0:1]
	v_add_co_u32_e64 v12, s[0:1], 2, v9
	v_addc_co_u32_e64 v13, s[0:1], 0, v10, s[0:1]
	v_add_co_u32_e64 v14, s[0:1], 1, v9
	v_addc_co_u32_e64 v15, s[0:1], 0, v10, s[0:1]
	v_subb_co_u32_e32 v5, vcc, v8, v5, vcc
	v_cmp_ne_u32_e64 s[0:1], 0, v11
	v_cmp_le_u32_e32 vcc, s19, v5
	v_cndmask_b32_e64 v11, v15, v13, s[0:1]
	v_cndmask_b32_e64 v13, 0, -1, vcc
	v_cmp_le_u32_e32 vcc, s18, v4
	v_cndmask_b32_e64 v4, 0, -1, vcc
	v_cmp_eq_u32_e32 vcc, s19, v5
	v_cndmask_b32_e32 v4, v13, v4, vcc
	v_cmp_ne_u32_e32 vcc, 0, v4
	v_cndmask_b32_e64 v4, v14, v12, s[0:1]
	v_cndmask_b32_e32 v5, v10, v11, vcc
	v_cndmask_b32_e32 v4, v9, v4, vcc
.LBB0_4:                                ;   in Loop: Header=BB0_2 Depth=1
	s_andn2_saveexec_b64 s[0:1], s[20:21]
	s_cbranch_execz .LBB0_6
; %bb.5:                                ;   in Loop: Header=BB0_2 Depth=1
	v_cvt_f32_u32_e32 v4, s18
	s_sub_i32 s20, 0, s18
	v_rcp_iflag_f32_e32 v4, v4
	v_mul_f32_e32 v4, 0x4f7ffffe, v4
	v_cvt_u32_f32_e32 v4, v4
	v_mul_lo_u32 v5, s20, v4
	v_mul_hi_u32 v5, v4, v5
	v_add_u32_e32 v4, v4, v5
	v_mul_hi_u32 v4, v7, v4
	v_mul_lo_u32 v5, v4, s18
	v_add_u32_e32 v9, 1, v4
	v_sub_u32_e32 v5, v7, v5
	v_subrev_u32_e32 v10, s18, v5
	v_cmp_le_u32_e32 vcc, s18, v5
	v_cndmask_b32_e32 v5, v5, v10, vcc
	v_cndmask_b32_e32 v4, v4, v9, vcc
	v_add_u32_e32 v9, 1, v4
	v_cmp_le_u32_e32 vcc, s18, v5
	v_cndmask_b32_e32 v4, v4, v9, vcc
	v_mov_b32_e32 v5, v3
.LBB0_6:                                ;   in Loop: Header=BB0_2 Depth=1
	s_or_b64 exec, exec, s[0:1]
	v_mul_lo_u32 v11, v5, s18
	v_mul_lo_u32 v12, v4, s19
	v_mad_u64_u32 v[9:10], s[0:1], v4, s18, 0
	s_load_dwordx2 s[0:1], s[6:7], 0x0
	s_add_u32 s14, s14, 1
	v_add3_u32 v10, v10, v12, v11
	v_sub_co_u32_e32 v7, vcc, v7, v9
	v_subb_co_u32_e32 v8, vcc, v8, v10, vcc
	s_waitcnt lgkmcnt(0)
	v_mul_lo_u32 v8, s0, v8
	v_mul_lo_u32 v9, s1, v7
	v_mad_u64_u32 v[1:2], s[0:1], s0, v7, v[1:2]
	s_addc_u32 s15, s15, 0
	s_add_u32 s6, s6, 8
	v_add3_u32 v2, v9, v2, v8
	v_mov_b32_e32 v7, s10
	v_mov_b32_e32 v8, s11
	s_addc_u32 s7, s7, 0
	v_cmp_ge_u64_e32 vcc, s[14:15], v[7:8]
	s_add_u32 s16, s16, 8
	s_addc_u32 s17, s17, 0
	s_cbranch_vccnz .LBB0_8
; %bb.7:                                ;   in Loop: Header=BB0_2 Depth=1
	v_mov_b32_e32 v8, v5
	v_mov_b32_e32 v7, v4
	s_branch .LBB0_2
.LBB0_8:
	s_lshl_b64 s[0:1], s[10:11], 3
	s_add_u32 s0, s12, s0
	s_addc_u32 s1, s13, s1
	s_load_dwordx2 s[6:7], s[0:1], 0x0
	s_load_dwordx2 s[10:11], s[4:5], 0x20
                                        ; implicit-def: $vgpr9
                                        ; implicit-def: $vgpr10
                                        ; implicit-def: $vgpr11
                                        ; implicit-def: $vgpr12
                                        ; implicit-def: $vgpr13
                                        ; implicit-def: $vgpr14
                                        ; implicit-def: $vgpr20
                                        ; implicit-def: $vgpr21
                                        ; implicit-def: $vgpr22
                                        ; implicit-def: $vgpr23
	s_waitcnt lgkmcnt(0)
	v_mad_u64_u32 v[1:2], s[0:1], s6, v4, v[1:2]
	s_mov_b32 s0, 0x6906907
	v_mul_lo_u32 v3, s6, v5
	v_mul_lo_u32 v7, s7, v4
	v_mul_hi_u32 v8, v0, s0
	v_cmp_gt_u64_e32 vcc, s[10:11], v[4:5]
	v_add3_u32 v2, v7, v2, v3
	v_mul_u32_u24_e32 v3, 39, v8
	v_sub_u32_e32 v4, v0, v3
	v_mov_b32_e32 v3, 0
	v_mov_b32_e32 v0, 0
                                        ; implicit-def: $vgpr7
                                        ; implicit-def: $vgpr8
	s_and_saveexec_b64 s[4:5], vcc
	s_cbranch_execz .LBB0_12
; %bb.9:
	v_cmp_gt_u32_e64 s[0:1], 33, v4
	v_mov_b32_e32 v0, 0
                                        ; implicit-def: $vgpr23
                                        ; implicit-def: $vgpr22
                                        ; implicit-def: $vgpr21
                                        ; implicit-def: $vgpr20
                                        ; implicit-def: $vgpr14
                                        ; implicit-def: $vgpr13
                                        ; implicit-def: $vgpr12
                                        ; implicit-def: $vgpr11
                                        ; implicit-def: $vgpr10
                                        ; implicit-def: $vgpr9
                                        ; implicit-def: $vgpr8
                                        ; implicit-def: $vgpr7
	s_and_saveexec_b64 s[6:7], s[0:1]
	s_cbranch_execz .LBB0_11
; %bb.10:
	v_lshlrev_b64 v[7:8], 2, v[1:2]
	v_mov_b32_e32 v5, 0
	v_mov_b32_e32 v0, s3
	v_add_co_u32_e64 v3, s[0:1], s2, v7
	v_addc_co_u32_e64 v0, s[0:1], v0, v8, s[0:1]
	v_lshlrev_b64 v[7:8], 2, v[4:5]
	v_add_co_u32_e64 v15, s[0:1], v3, v7
	v_addc_co_u32_e64 v16, s[0:1], v0, v8, s[0:1]
	global_load_dword v0, v[15:16], off
	global_load_dword v7, v[15:16], off offset:132
	global_load_dword v9, v[15:16], off offset:264
	;; [unrolled: 1-line block ×12, first 2 shown]
.LBB0_11:
	s_or_b64 exec, exec, s[6:7]
	v_mov_b32_e32 v3, v4
.LBB0_12:
	s_or_b64 exec, exec, s[4:5]
	s_mov_b32 s0, 0xaaaaaaab
	v_mul_hi_u32 v5, v6, s0
	s_waitcnt vmcnt(0)
	v_pk_add_f16 v31, v7, v8 neg_lo:[0,1] neg_hi:[0,1]
	v_lshrrev_b32_e32 v30, 16, v31
	v_pk_add_f16 v33, v9, v10 neg_lo:[0,1] neg_hi:[0,1]
	v_lshrrev_b32_e32 v5, 1, v5
	v_pk_add_f16 v24, v7, v8
	v_lshl_add_u32 v5, v5, 1, v5
	s_movk_i32 s6, 0x2fb7
	v_mul_f16_e32 v35, 0xbbf1, v30
	v_lshrrev_b32_e32 v32, 16, v33
	v_sub_u32_e32 v19, v6, v5
	v_fma_f16 v5, v24, s6, -v35
	s_mov_b32 s7, 0xb5ac
	v_mul_f16_e32 v45, 0xbb7b, v30
	v_pk_add_f16 v25, v9, v10
	s_mov_b32 s10, 0xbbc4
	v_mul_f16_e32 v38, 0xb3a8, v32
	v_pk_add_f16 v36, v11, v12 neg_lo:[0,1] neg_hi:[0,1]
	v_add_f16_e32 v5, v0, v5
	v_fma_f16 v6, v24, s7, -v45
	v_fma_f16 v15, v25, s10, -v38
	s_mov_b32 s11, 0xb9fd
	v_mul_f16_e32 v51, 0x394e, v32
	v_lshrrev_b32_e32 v34, 16, v36
	v_add_f16_e32 v6, v0, v6
	v_add_f16_e32 v5, v5, v15
	v_fma_f16 v15, v25, s11, -v51
	v_pk_add_f16 v26, v11, v12
	v_mul_f16_e32 v43, 0x3b7b, v34
	v_pk_add_f16 v39, v13, v14 neg_lo:[0,1] neg_hi:[0,1]
	v_add_f16_e32 v6, v6, v15
	v_fma_f16 v15, v26, s7, -v43
	s_movk_i32 s12, 0x3b15
	v_mul_f16_e32 v55, 0x3770, v34
	v_lshrrev_b32_e32 v37, 16, v39
	v_add_f16_e32 v5, v5, v15
	v_fma_f16 v15, v26, s12, -v55
	v_pk_add_f16 v27, v13, v14
	v_mul_f16_e32 v48, 0x3770, v37
	v_pk_add_f16 v44, v20, v21 neg_lo:[0,1] neg_hi:[0,1]
	v_add_f16_e32 v6, v6, v15
	v_fma_f16 v15, v27, s12, -v48
	v_mul_f16_e32 v59, 0xbbf1, v37
	v_lshrrev_b32_e32 v40, 16, v44
	v_add_f16_e32 v5, v5, v15
	v_fma_f16 v15, v27, s6, -v59
	s_movk_i32 s13, 0x388b
	v_pk_add_f16 v28, v20, v21
	v_mul_f16_e32 v53, 0xba95, v40
	v_pk_add_f16 v49, v22, v23 neg_lo:[0,1] neg_hi:[0,1]
	v_add_f16_e32 v6, v6, v15
	v_fma_f16 v15, v28, s13, -v53
	v_mul_f16_e32 v63, 0x33a8, v40
	v_lshrrev_b32_e32 v46, 16, v49
	v_add_f16_e32 v5, v5, v15
	v_fma_f16 v15, v28, s10, -v63
	v_pk_add_f16 v29, v22, v23
	v_mul_f16_e32 v58, 0xb94e, v46
	v_add_f16_e32 v15, v6, v15
	v_fma_f16 v6, v29, s11, -v58
	v_mul_f16_e32 v66, 0x3a95, v46
	v_add_f16_e32 v6, v5, v6
	v_fma_f16 v5, v29, s13, -v66
	;; [unrolled: 3-line block ×4, first 2 shown]
	v_lshrrev_b32_e32 v41, 16, v24
	v_mul_f16_e32 v60, 0xba95, v31
	v_add_f16_e32 v15, v15, v16
	v_fma_f16 v16, v41, s13, v60
	v_lshrrev_b32_e32 v42, 16, v25
	v_mul_f16_e32 v61, 0xbb7b, v33
	v_add_f16_sdwa v16, v0, v16 dst_sel:DWORD dst_unused:UNUSED_PAD src0_sel:WORD_1 src1_sel:DWORD
	v_fma_f16 v17, v42, s7, v61
	v_mul_f16_e32 v69, 0xbbf1, v31
	v_add_f16_e32 v16, v16, v17
	v_fma_f16 v17, v41, s6, v69
	v_mul_f16_e32 v70, 0xb3a8, v33
	v_add_f16_sdwa v17, v0, v17 dst_sel:DWORD dst_unused:UNUSED_PAD src0_sel:WORD_1 src1_sel:DWORD
	v_fma_f16 v18, v42, s10, v70
	v_mul_f16_e32 v78, 0xbb7b, v31
	v_add_f16_e32 v17, v17, v18
	v_fma_f16 v18, v41, s7, v78
	v_mul_f16_e32 v79, 0x394e, v33
	v_add_f16_sdwa v18, v0, v18 dst_sel:DWORD dst_unused:UNUSED_PAD src0_sel:WORD_1 src1_sel:DWORD
	v_fma_f16 v47, v42, s11, v79
	v_mul_f16_e32 v62, 0xb3a8, v34
	v_add_f16_e32 v18, v18, v47
	v_fma_f16 v47, v26, s10, -v62
	v_add_f16_e32 v15, v15, v47
	v_lshrrev_b32_e32 v47, 16, v26
	v_mul_f16_e32 v65, 0xb3a8, v36
	v_fma_f16 v50, v47, s10, v65
	v_mul_f16_e32 v73, 0x3b7b, v36
	v_add_f16_e32 v16, v16, v50
	v_fma_f16 v50, v47, s7, v73
	v_mul_f16_e32 v80, 0x3770, v36
	v_add_f16_e32 v17, v17, v50
	v_fma_f16 v50, v47, s12, v80
	v_mul_f16_e32 v64, 0x394e, v37
	v_add_f16_e32 v18, v18, v50
	v_fma_f16 v50, v27, s11, -v64
	v_add_f16_e32 v15, v15, v50
	v_lshrrev_b32_e32 v50, 16, v27
	v_mul_f16_e32 v68, 0x394e, v39
	v_fma_f16 v52, v50, s11, v68
	v_mul_f16_e32 v75, 0x3770, v39
	v_add_f16_e32 v16, v16, v52
	v_fma_f16 v52, v50, s12, v75
	v_mul_f16_e32 v81, 0xbbf1, v39
	v_add_f16_e32 v17, v17, v52
	;; [unrolled: 13-line block ×3, first 2 shown]
	v_fma_f16 v17, v52, s10, v82
	v_mul_f16_e32 v72, 0x3770, v46
	v_add_f16_e32 v84, v18, v17
	v_fma_f16 v17, v29, s12, -v72
	v_lshrrev_b32_e32 v54, 16, v29
	v_mul_f16_e32 v74, 0x3770, v49
	v_add_f16_e32 v15, v15, v17
	v_fma_f16 v17, v54, s12, v74
	v_mul_f16_e32 v77, 0xb94e, v49
	v_add_f16_e32 v17, v16, v17
	v_fma_f16 v16, v54, s11, v77
	v_add_f16_e32 v18, v83, v16
	v_mul_f16_e32 v83, 0x3a95, v49
	v_fma_f16 v16, v54, s13, v83
	v_mul_u32_u24_e32 v19, 0x1ad, v19
	v_add_f16_e32 v16, v84, v16
	s_mov_b32 s17, 0xba95
	s_mov_b32 s14, 0xbb7b
	;; [unrolled: 1-line block ×3, first 2 shown]
	s_movk_i32 s15, 0x3770
	s_movk_i32 s18, 0x3bf1
	;; [unrolled: 1-line block ×3, first 2 shown]
	s_mov_b32 s19, 0xb94e
	s_movk_i32 s20, 0x3a95
	v_cmp_gt_u32_e64 s[0:1], 33, v4
	v_lshlrev_b32_e32 v19, 2, v19
	s_and_saveexec_b64 s[4:5], s[0:1]
	s_cbranch_execz .LBB0_14
; %bb.13:
	v_pk_mul_f16 v111, v24, s10 op_sel_hi:[1,0]
	v_pk_mul_f16 v112, v31, s21 op_sel_hi:[1,0]
	;; [unrolled: 1-line block ×4, first 2 shown]
	v_add_f16_sdwa v111, v112, v111 dst_sel:DWORD dst_unused:UNUSED_PAD src0_sel:WORD_1 src1_sel:DWORD
	v_mul_f16_e32 v86, 0x2fb7, v24
	v_pk_mul_f16 v115, v26, s11 op_sel_hi:[1,0]
	v_pk_mul_f16 v116, v36, s19 op_sel_hi:[1,0]
	v_add_f16_sdwa v113, v114, v113 dst_sel:DWORD dst_unused:UNUSED_PAD src0_sel:WORD_1 src1_sel:DWORD
	v_add_f16_e32 v111, v0, v111
	v_mul_f16_e32 v92, 0xbbc4, v25
	v_pk_mul_f16 v117, v27, s13 op_sel_hi:[1,0]
	v_pk_mul_f16 v118, v39, s20 op_sel_hi:[1,0]
	v_add_f16_e32 v111, v111, v113
	v_add_f16_sdwa v113, v116, v115 dst_sel:DWORD dst_unused:UNUSED_PAD src0_sel:WORD_1 src1_sel:DWORD
	v_add_f16_e32 v35, v35, v86
	v_mul_f16_e32 v95, 0xb9fd, v42
	v_mul_f16_e32 v98, 0xb5ac, v26
	v_pk_mul_f16 v119, v28, s7 op_sel_hi:[1,0]
	v_pk_mul_f16 v120, v44, s14 op_sel_hi:[1,0]
	v_add_f16_e32 v111, v111, v113
	v_add_f16_sdwa v113, v118, v117 dst_sel:DWORD dst_unused:UNUSED_PAD src0_sel:WORD_1 src1_sel:DWORD
	v_add_f16_e32 v35, v0, v35
	v_add_f16_e32 v38, v38, v92
	v_pk_add_f16 v7, v0, v7
	v_mul_f16_e32 v104, 0x3b15, v27
	v_pk_mul_f16 v121, v29, s6 op_sel_hi:[1,0]
	v_pk_mul_f16 v122, v49, s18 op_sel_hi:[1,0]
	v_add_f16_e32 v111, v111, v113
	v_add_f16_sdwa v113, v120, v119 dst_sel:DWORD dst_unused:UNUSED_PAD src0_sel:WORD_1 src1_sel:DWORD
	v_sub_f16_e32 v79, v95, v79
	v_mul_f16_e32 v95, 0xbbc4, v52
	v_add_f16_e32 v35, v35, v38
	v_add_f16_e32 v38, v43, v98
	v_pk_add_f16 v7, v7, v9
	v_mul_f16_e32 v110, 0x388b, v28
	v_add_f16_e32 v111, v111, v113
	v_add_f16_sdwa v113, v122, v121 dst_sel:DWORD dst_unused:UNUSED_PAD src0_sel:WORD_1 src1_sel:DWORD
	v_sub_f16_e32 v82, v95, v82
	v_mul_f16_e32 v95, 0x388b, v54
	v_add_f16_e32 v35, v35, v38
	v_add_f16_e32 v38, v48, v104
	v_pk_add_f16 v7, v7, v11
	v_add_f16_e32 v111, v111, v113
	v_mul_f16_e32 v113, 0xb94e, v31
	v_sub_f16_e32 v83, v95, v83
	v_mul_f16_e32 v95, 0xb9fd, v29
	v_add_f16_e32 v35, v35, v38
	v_add_f16_e32 v38, v53, v110
	v_pk_add_f16 v7, v7, v13
	v_mul_f16_e32 v85, 0x388b, v41
	v_fma_f16 v115, v41, s11, -v113
	v_mul_f16_e32 v117, 0x3bf1, v33
	v_add_f16_e32 v35, v35, v38
	v_add_f16_e32 v38, v58, v95
	v_pk_add_f16 v7, v7, v20
	v_mul_f16_e32 v91, 0xb5ac, v42
	v_add_f16_sdwa v115, v0, v115 dst_sel:DWORD dst_unused:UNUSED_PAD src0_sel:WORD_1 src1_sel:DWORD
	v_fma_f16 v119, v42, s6, -v117
	v_add_f16_e32 v35, v35, v38
	v_sub_f16_e32 v38, v85, v60
	v_pk_add_f16 v7, v7, v22
	v_mul_f16_e32 v88, 0xb5ac, v24
	v_mul_f16_e32 v97, 0xbbc4, v47
	v_add_f16_e32 v115, v115, v119
	v_mul_f16_e32 v119, 0xba95, v36
	v_add_f16_sdwa v38, v0, v38 dst_sel:DWORD dst_unused:UNUSED_PAD src0_sel:WORD_1 src1_sel:DWORD
	v_sub_f16_e32 v43, v91, v61
	v_pk_add_f16 v7, v7, v23
	v_mul_f16_e32 v94, 0xb9fd, v25
	v_mul_f16_e32 v103, 0xb9fd, v50
	v_fma_f16 v121, v47, s13, -v119
	v_add_f16_e32 v45, v45, v88
	v_add_f16_e32 v38, v38, v43
	v_sub_f16_e32 v43, v97, v65
	v_pk_add_f16 v7, v21, v7
	v_mul_f16_e32 v100, 0x3b15, v26
	v_mul_f16_e32 v107, 0x2fb7, v50
	;; [unrolled: 1-line block ×3, first 2 shown]
	v_add_f16_e32 v115, v115, v121
	v_mul_f16_e32 v121, 0x33a8, v39
	v_add_f16_e32 v51, v51, v94
	v_add_f16_e32 v45, v0, v45
	v_add_f16_e32 v38, v38, v43
	v_sub_f16_e32 v43, v103, v68
	v_pk_add_f16 v7, v14, v7
	v_mul_f16_e32 v89, 0xb5ac, v41
	v_mul_f16_e32 v106, 0x2fb7, v27
	v_fma_f16 v123, v50, s10, -v121
	v_sub_f16_e32 v81, v107, v81
	v_mul_f16_e32 v107, 0x3b15, v54
	v_add_f16_e32 v45, v45, v51
	v_add_f16_e32 v55, v55, v100
	;; [unrolled: 1-line block ×3, first 2 shown]
	v_sub_f16_e32 v43, v109, v71
	v_pk_add_f16 v7, v12, v7
	v_mul_f16_e32 v84, 0x388b, v24
	v_mul_f16_e32 v87, 0x2fb7, v41
	v_add_f16_e32 v115, v115, v123
	v_mul_f16_e32 v123, 0x3770, v44
	v_sub_f16_e32 v78, v89, v78
	v_mul_f16_e32 v89, 0xbbc4, v28
	v_mul_f16_e32 v51, 0xb9fd, v24
	v_add_f16_e32 v45, v45, v55
	v_add_f16_e32 v59, v59, v106
	;; [unrolled: 1-line block ×3, first 2 shown]
	v_sub_f16_e32 v43, v107, v74
	v_mul_f16_e32 v31, 0xb770, v31
	v_pk_add_f16 v7, v10, v7
	v_mul_f16_e32 v90, 0xb5ac, v25
	v_mul_f16_e32 v93, 0xbbc4, v42
	v_fma_f16 v124, v52, s12, -v123
	v_mul_f16_e32 v94, 0x388b, v29
	v_mul_f16_e32 v100, 0xb94e, v30
	v_fma_f16 v55, v30, s19, v51
	v_mul_f16_e32 v106, 0x2fb7, v25
	v_add_f16_e32 v45, v45, v59
	v_add_f16_e32 v63, v63, v89
	v_sub_f16_e32 v69, v87, v69
	v_add_f16_e32 v38, v38, v43
	v_add_f16_e32 v43, v56, v84
	v_fma_f16 v60, v41, s12, -v31
	v_mul_f16_e32 v33, 0xba95, v33
	v_mul_f16_e32 v30, 0xb770, v30
	v_pk_add_f16 v7, v8, v7
	v_mul_u32_u24_e32 v8, 52, v4
	v_mul_f16_e32 v96, 0xbbc4, v26
	v_mul_f16_e32 v99, 0xb5ac, v47
	v_add_f16_e32 v115, v115, v124
	v_mul_f16_e32 v124, 0xbb7b, v49
	v_mul_f16_e32 v59, 0x3bf1, v32
	v_fma_f16 v89, v32, s18, v106
	v_add_f16_e32 v45, v45, v63
	v_mul_f16_e32 v63, 0x388b, v26
	v_add_f16_e32 v66, v66, v94
	v_sub_f16_e32 v70, v93, v70
	v_add_f16_sdwa v69, v0, v69 dst_sel:DWORD dst_unused:UNUSED_PAD src0_sel:WORD_1 src1_sel:DWORD
	v_add_f16_e32 v48, v57, v90
	v_fma_f16 v61, v42, s13, -v33
	v_mul_f16_e32 v36, 0xbbf1, v36
	v_fma_f16 v68, v24, s12, v30
	v_mul_f16_e32 v32, 0xba95, v32
	v_add3_u32 v11, 0, v8, v19
	v_pack_b32_f16 v8, v43, v60
	v_mul_f16_e32 v102, 0xb9fd, v27
	v_mul_f16_e32 v105, 0x3b15, v50
	v_fma_f16 v125, v54, s7, -v124
	v_mul_f16_e32 v94, 0xba95, v34
	v_add_f16_e32 v45, v45, v66
	v_fma_f16 v66, v34, s17, v63
	v_mul_f16_e32 v87, 0xbbc4, v27
	v_add_f16_e32 v69, v69, v70
	v_sub_f16_e32 v73, v99, v73
	v_add_f16_e32 v53, v62, v96
	v_fma_f16 v62, v47, s6, -v36
	v_mul_f16_e32 v39, 0xbb7b, v39
	v_add_f16_e32 v68, v0, v68
	v_fma_f16 v71, v25, s13, v32
	v_mul_f16_e32 v34, 0xbbf1, v34
	v_pk_add_f16 v8, v0, v8
	v_pack_b32_f16 v9, v48, v61
	v_mul_f16_e32 v101, 0x3b15, v47
	v_mul_f16_e32 v108, 0x2fb7, v28
	v_add_f16_e32 v115, v115, v125
	v_mul_f16_e32 v125, 0x388b, v52
	v_mul_f16_e32 v93, 0x33a8, v37
	v_fma_f16 v70, v37, s16, v87
	v_mul_f16_e32 v99, 0x3b15, v28
	v_add_f16_e32 v69, v69, v73
	v_sub_f16_e32 v75, v105, v75
	v_add_f16_e32 v56, v64, v102
	v_fma_f16 v64, v50, s7, -v39
	v_mul_f16_e32 v44, 0xb94e, v44
	v_add_f16_e32 v68, v68, v71
	v_fma_f16 v71, v26, s6, v34
	v_mul_f16_e32 v37, 0xbb7b, v37
	v_pk_add_f16 v8, v8, v9
	v_pack_b32_f16 v9, v53, v62
	v_sub_f16_e32 v80, v101, v80
	v_mul_f16_e32 v101, 0x3b15, v29
	v_mul_f16_e32 v73, 0x3770, v40
	v_fma_f16 v105, v40, s15, v99
	v_add_f16_e32 v69, v69, v75
	v_mul_f16_e32 v75, 0xb5ac, v29
	v_sub_f16_e32 v76, v125, v76
	v_add_f16_e32 v57, v67, v108
	v_fma_f16 v65, v52, s11, -v44
	v_mul_f16_e32 v49, 0xb3a8, v49
	v_add_f16_e32 v68, v68, v71
	v_fma_f16 v71, v27, s7, v37
	v_mul_f16_e32 v40, 0xb94e, v40
	v_pk_add_f16 v8, v8, v9
	v_pack_b32_f16 v9, v56, v64
	v_mul_f16_e32 v125, 0xbb7b, v46
	v_add_f16_e32 v69, v69, v76
	v_fma_f16 v76, v46, s14, v75
	v_add_f16_e32 v58, v72, v101
	v_fma_f16 v67, v54, s10, -v49
	v_add_f16_e32 v68, v68, v71
	v_fma_f16 v71, v28, s11, v40
	v_mul_f16_e32 v46, 0xb3a8, v46
	v_pk_add_f16 v8, v8, v9
	v_pack_b32_f16 v9, v57, v65
	v_mul_f16_e32 v88, 0xb9fd, v54
	v_add_f16_e32 v68, v68, v71
	v_fma_f16 v71, v29, s10, v46
	v_pk_add_f16 v8, v8, v9
	v_pack_b32_f16 v9, v58, v67
	v_sub_f16_e32 v77, v88, v77
	v_add_f16_e32 v68, v68, v71
	v_fma_f16 v71, v41, s11, v113
	s_mov_b32 s0, 0xffff
	v_pk_add_f16 v8, v8, v9
	v_add_f16_e32 v69, v69, v77
	v_add_f16_sdwa v71, v0, v71 dst_sel:DWORD dst_unused:UNUSED_PAD src0_sel:WORD_1 src1_sel:DWORD
	v_fma_f16 v72, v42, s6, v117
	v_bfi_b32 v9, s0, v68, v8
	v_pack_b32_f16 v8, v8, v38
	v_add_f16_e32 v71, v71, v72
	v_fma_f16 v72, v47, s13, v119
	ds_write2_b32 v11, v9, v8 offset0:1 offset1:2
	v_pack_b32_f16 v8, v35, v69
	v_add_f16_e32 v71, v71, v72
	v_fma_f16 v72, v50, s10, v121
	ds_write2_b32 v11, v7, v8 offset1:3
	v_pack_b32_f16 v7, v55, v78
	v_add_f16_e32 v71, v71, v72
	v_fma_f16 v72, v52, s12, v123
	v_pk_add_f16 v7, v0, v7
	v_pack_b32_f16 v8, v89, v79
	v_add_f16_e32 v71, v71, v72
	v_fma_f16 v72, v54, s7, v124
	v_pk_add_f16 v7, v7, v8
	v_pack_b32_f16 v8, v66, v80
	v_add_f16_e32 v71, v71, v72
	v_pack_b32_f16 v72, v100, v112
	v_pk_add_f16 v7, v7, v8
	v_pack_b32_f16 v8, v70, v81
	v_pk_add_f16 v51, v51, v72 neg_lo:[0,1] neg_hi:[0,1]
	v_pk_fma_f16 v72, v24, s10, v112 op_sel:[0,0,1] op_sel_hi:[1,0,0]
	v_pack_b32_f16 v59, v59, v114
	v_pk_add_f16 v7, v7, v8
	v_pack_b32_f16 v8, v105, v82
	v_bfi_b32 v51, s0, v51, v72
	v_pk_add_f16 v59, v106, v59 neg_lo:[0,1] neg_hi:[0,1]
	v_pk_fma_f16 v72, v25, s12, v114 op_sel:[0,0,1] op_sel_hi:[1,0,0]
	v_pk_add_f16 v7, v7, v8
	v_pack_b32_f16 v8, v76, v83
	v_bfi_b32 v59, s0, v59, v72
	v_pack_b32_f16 v72, v94, v116
	v_pk_add_f16 v7, v7, v8
	v_pk_add_f16 v63, v63, v72 neg_lo:[0,1] neg_hi:[0,1]
	v_pk_fma_f16 v72, v26, s11, v116 op_sel:[0,0,1] op_sel_hi:[1,0,0]
	v_bfi_b32 v8, s0, v45, v7
	v_pack_b32_f16 v7, v7, v115
	v_bfi_b32 v63, s0, v63, v72
	v_pack_b32_f16 v72, v93, v118
	v_fma_f16 v31, v41, s12, v31
	v_fma_f16 v30, v24, s12, -v30
	ds_write2_b32 v11, v8, v7 offset0:4 offset1:5
	ds_write_b16 v11, v111 offset:24
	v_pk_fma_f16 v7, v24, s10, v112 op_sel:[0,0,1] op_sel_hi:[1,0,0] neg_lo:[0,0,1] neg_hi:[0,0,1]
	v_pk_add_f16 v72, v87, v72 neg_lo:[0,1] neg_hi:[0,1]
	v_pk_fma_f16 v74, v27, s13, v118 op_sel:[0,0,1] op_sel_hi:[1,0,0]
	v_pack_b32_f16 v73, v73, v120
	v_add_f16_sdwa v31, v0, v31 dst_sel:DWORD dst_unused:UNUSED_PAD src0_sel:WORD_1 src1_sel:DWORD
	v_add_f16_e32 v30, v0, v30
	v_pk_add_f16 v7, v0, v7
	v_pk_fma_f16 v8, v25, s12, v114 op_sel:[0,0,1] op_sel_hi:[1,0,0] neg_lo:[0,0,1] neg_hi:[0,0,1]
	v_pk_add_f16 v0, v0, v51
	v_bfi_b32 v72, s0, v72, v74
	v_pk_add_f16 v73, v99, v73 neg_lo:[0,1] neg_hi:[0,1]
	v_pk_fma_f16 v74, v28, s7, v120 op_sel:[0,0,1] op_sel_hi:[1,0,0]
	v_fma_f16 v32, v25, s13, -v32
	v_pk_add_f16 v7, v7, v8
	v_pk_fma_f16 v8, v26, s11, v116 op_sel:[0,0,1] op_sel_hi:[1,0,0] neg_lo:[0,0,1] neg_hi:[0,0,1]
	v_pk_add_f16 v0, v0, v59
	v_bfi_b32 v73, s0, v73, v74
	v_pack_b32_f16 v74, v125, v122
	v_add_f16_e32 v30, v30, v32
	v_fma_f16 v32, v26, s6, -v34
	v_pk_add_f16 v7, v7, v8
	v_pk_fma_f16 v8, v27, s13, v118 op_sel:[0,0,1] op_sel_hi:[1,0,0] neg_lo:[0,0,1] neg_hi:[0,0,1]
	v_pk_add_f16 v0, v0, v63
	v_pk_add_f16 v74, v75, v74 neg_lo:[0,1] neg_hi:[0,1]
	v_pk_fma_f16 v75, v29, s6, v122 op_sel:[0,0,1] op_sel_hi:[1,0,0]
	v_fma_f16 v33, v42, s13, v33
	v_add_f16_e32 v30, v30, v32
	v_fma_f16 v32, v27, s7, -v37
	v_pk_add_f16 v7, v7, v8
	v_pk_fma_f16 v8, v28, s7, v120 op_sel:[0,0,1] op_sel_hi:[1,0,0] neg_lo:[0,0,1] neg_hi:[0,0,1]
	v_pk_add_f16 v0, v0, v72
	v_bfi_b32 v74, s0, v74, v75
	v_add_f16_e32 v31, v31, v33
	v_fma_f16 v33, v47, s6, v36
	v_add_f16_e32 v30, v30, v32
	v_fma_f16 v32, v28, s11, -v40
	v_pk_add_f16 v7, v7, v8
	v_pk_fma_f16 v8, v29, s6, v122 op_sel:[0,0,1] op_sel_hi:[1,0,0] neg_lo:[0,0,1] neg_hi:[0,0,1]
	v_pk_add_f16 v0, v0, v73
	v_add_f16_e32 v31, v31, v33
	v_fma_f16 v33, v50, s7, v39
	v_add_f16_e32 v30, v30, v32
	v_fma_f16 v32, v29, s10, -v46
	v_pk_add_f16 v7, v7, v8
	v_pk_add_f16 v0, v0, v74
	s_mov_b32 s0, 0x5040100
	v_add_f16_e32 v31, v31, v33
	v_fma_f16 v33, v52, s11, v44
	v_add_f16_e32 v30, v30, v32
	v_alignbit_b32 v8, v0, v0, 16
	v_alignbit_b32 v7, v7, v7, 16
	v_perm_b32 v10, v6, v16, s0
	v_perm_b32 v9, v5, v71, s0
	v_add_f16_e32 v31, v31, v33
	v_fma_f16 v33, v54, s10, v49
	ds_write_b128 v11, v[7:10] offset:26
	v_perm_b32 v7, v15, v18, s0
	v_perm_b32 v8, v30, v17, s0
	v_add_f16_e32 v31, v31, v33
	ds_write_b64 v11, v[7:8] offset:42
	ds_write_b16 v11, v31 offset:50
.LBB0_14:
	s_or_b64 exec, exec, s[4:5]
	v_lshlrev_b32_e32 v0, 2, v4
	v_add3_u32 v20, 0, v19, v0
	v_add3_u32 v0, 0, v0, v19
	v_add_u32_e32 v7, 0x200, v0
	v_add_u32_e32 v13, 0x400, v0
	s_waitcnt lgkmcnt(0)
	s_barrier
	ds_read_b32 v21, v20
	ds_read2_b32 v[9:10], v0 offset0:143 offset1:182
	ds_read2_b32 v[11:12], v7 offset0:93 offset1:158
	;; [unrolled: 1-line block ×4, first 2 shown]
	v_cmp_gt_u32_e64 s[0:1], 26, v4
	s_and_saveexec_b64 s[4:5], s[0:1]
	s_cbranch_execz .LBB0_16
; %bb.15:
	v_add_u32_e32 v5, 0x100, v0
	ds_read_b32 v15, v0 offset:1612
	ds_read2_b32 v[5:6], v5 offset0:53 offset1:196
	s_waitcnt lgkmcnt(1)
	v_lshrrev_b32_e32 v17, 16, v15
	s_waitcnt lgkmcnt(0)
	v_lshrrev_b32_e32 v16, 16, v5
	v_lshrrev_b32_e32 v18, 16, v6
.LBB0_16:
	s_or_b64 exec, exec, s[4:5]
	s_movk_i32 s6, 0x4f
	v_add_u16_e32 v24, 39, v4
	v_mul_lo_u16_sdwa v22, v4, s6 dst_sel:DWORD dst_unused:UNUSED_PAD src0_sel:BYTE_0 src1_sel:DWORD
	v_mul_lo_u16_sdwa v25, v24, s6 dst_sel:DWORD dst_unused:UNUSED_PAD src0_sel:BYTE_0 src1_sel:DWORD
	v_add_u16_e32 v27, 0x4e, v4
	v_lshrrev_b16_e32 v29, 10, v22
	v_lshrrev_b16_e32 v31, 10, v25
	v_mul_lo_u16_sdwa v26, v27, s6 dst_sel:DWORD dst_unused:UNUSED_PAD src0_sel:BYTE_0 src1_sel:DWORD
	v_mul_lo_u16_e32 v22, 13, v29
	v_mul_lo_u16_e32 v25, 13, v31
	v_lshrrev_b16_e32 v33, 10, v26
	v_sub_u16_e32 v30, v4, v22
	v_mov_b32_e32 v22, 3
	v_sub_u16_e32 v32, v24, v25
	v_mul_lo_u16_e32 v28, 13, v33
	v_lshlrev_b32_sdwa v23, v22, v30 dst_sel:DWORD dst_unused:UNUSED_PAD src0_sel:DWORD src1_sel:BYTE_0
	v_lshlrev_b32_sdwa v25, v22, v32 dst_sel:DWORD dst_unused:UNUSED_PAD src0_sel:DWORD src1_sel:BYTE_0
	v_sub_u16_e32 v34, v27, v28
	global_load_dwordx2 v[23:24], v23, s[8:9]
	v_lshlrev_b32_sdwa v27, v22, v34 dst_sel:DWORD dst_unused:UNUSED_PAD src0_sel:DWORD src1_sel:BYTE_0
	global_load_dwordx2 v[25:26], v25, s[8:9]
	s_waitcnt lgkmcnt(3)
	v_lshrrev_b32_e32 v38, 16, v9
	global_load_dwordx2 v[27:28], v27, s[8:9]
	s_waitcnt lgkmcnt(2)
	v_lshrrev_b32_e32 v39, 16, v12
	v_lshrrev_b32_e32 v40, 16, v10
	s_waitcnt lgkmcnt(0)
	v_lshrrev_b32_e32 v41, 16, v13
	v_lshrrev_b32_e32 v43, 16, v14
	v_lshrrev_b32_e32 v35, 16, v21
	v_lshrrev_b32_e32 v42, 16, v11
	v_lshrrev_b32_e32 v36, 16, v7
	v_lshrrev_b32_e32 v37, 16, v8
	s_mov_b32 s7, 0xbaee
	s_movk_i32 s10, 0x3aee
	s_movk_i32 s11, 0x9c
	s_waitcnt vmcnt(0)
	s_barrier
	v_mul_f16_sdwa v44, v23, v38 dst_sel:DWORD dst_unused:UNUSED_PAD src0_sel:WORD_1 src1_sel:DWORD
	v_mul_f16_sdwa v45, v23, v9 dst_sel:DWORD dst_unused:UNUSED_PAD src0_sel:WORD_1 src1_sel:DWORD
	;; [unrolled: 1-line block ×10, first 2 shown]
	v_fma_f16 v9, v23, v9, v44
	v_fma_f16 v23, v23, v38, -v45
	v_fma_f16 v12, v24, v12, v46
	v_fma_f16 v24, v24, v39, -v47
	v_fma_f16 v10, v25, v10, v48
	v_fma_f16 v13, v26, v13, v50
	v_mul_f16_sdwa v52, v27, v42 dst_sel:DWORD dst_unused:UNUSED_PAD src0_sel:WORD_1 src1_sel:DWORD
	v_mul_f16_sdwa v53, v27, v11 dst_sel:DWORD dst_unused:UNUSED_PAD src0_sel:WORD_1 src1_sel:DWORD
	v_fma_f16 v25, v25, v40, -v49
	v_fma_f16 v26, v26, v41, -v51
	v_fma_f16 v14, v28, v14, v54
	v_fma_f16 v28, v28, v43, -v55
	v_sub_f16_e32 v40, v23, v24
	v_add_f16_e32 v41, v35, v23
	v_add_f16_e32 v23, v23, v24
	;; [unrolled: 1-line block ×3, first 2 shown]
	v_fma_f16 v11, v27, v11, v52
	v_fma_f16 v27, v27, v42, -v53
	v_add_f16_e32 v38, v21, v9
	v_add_f16_e32 v39, v9, v12
	v_sub_f16_e32 v9, v9, v12
	v_add_f16_e32 v42, v7, v10
	v_sub_f16_e32 v44, v25, v26
	v_fma_f16 v23, v23, -0.5, v35
	v_fma_f16 v7, v43, -0.5, v7
	v_add_f16_e32 v12, v38, v12
	v_fma_f16 v21, v39, -0.5, v21
	v_fma_f16 v38, v9, s10, v23
	v_fma_f16 v9, v9, s7, v23
	;; [unrolled: 1-line block ×4, first 2 shown]
	v_add_f16_e32 v7, v37, v27
	v_add_f16_e32 v24, v41, v24
	;; [unrolled: 1-line block ×6, first 2 shown]
	v_fma_f16 v7, v7, -0.5, v37
	v_sub_f16_e32 v11, v11, v14
	v_add_f16_e32 v45, v36, v25
	v_add_f16_e32 v25, v25, v26
	;; [unrolled: 1-line block ×3, first 2 shown]
	v_fma_f16 v14, v11, s10, v7
	v_fma_f16 v11, v11, s7, v7
	v_mov_b32_e32 v7, 2
	v_sub_f16_e32 v48, v27, v28
	v_fma_f16 v25, v25, -0.5, v36
	v_fma_f16 v36, v40, s7, v21
	v_fma_f16 v21, v40, s10, v21
	v_mad_u32_u24 v27, v29, s11, 0
	v_lshlrev_b32_sdwa v28, v7, v30 dst_sel:DWORD dst_unused:UNUSED_PAD src0_sel:DWORD src1_sel:BYTE_0
	v_sub_f16_e32 v10, v10, v13
	v_add3_u32 v27, v27, v28, v19
	v_pack_b32_f16 v12, v12, v24
	v_pack_b32_f16 v24, v36, v38
	;; [unrolled: 1-line block ×3, first 2 shown]
	v_add_f16_e32 v13, v42, v13
	v_add_f16_e32 v26, v45, v26
	v_fma_f16 v40, v10, s10, v25
	v_fma_f16 v10, v10, s7, v25
	ds_write2_b32 v27, v12, v24 offset1:13
	ds_write_b32 v27, v9 offset:104
	v_mad_u32_u24 v9, v31, s11, 0
	v_lshlrev_b32_sdwa v12, v7, v32 dst_sel:DWORD dst_unused:UNUSED_PAD src0_sel:DWORD src1_sel:BYTE_0
	v_fma_f16 v8, v47, -0.5, v8
	v_add3_u32 v9, v9, v12, v19
	v_pack_b32_f16 v12, v13, v26
	v_pack_b32_f16 v13, v23, v40
	;; [unrolled: 1-line block ×3, first 2 shown]
	v_fma_f16 v25, v48, s7, v8
	v_fma_f16 v8, v48, s10, v8
	ds_write2_b32 v9, v12, v13 offset1:13
	ds_write_b32 v9, v10 offset:104
	v_mad_u32_u24 v9, v33, s11, 0
	v_lshlrev_b32_sdwa v10, v7, v34 dst_sel:DWORD dst_unused:UNUSED_PAD src0_sel:DWORD src1_sel:BYTE_0
	v_add3_u32 v9, v9, v10, v19
	v_pack_b32_f16 v10, v35, v41
	v_pack_b32_f16 v12, v25, v14
	;; [unrolled: 1-line block ×3, first 2 shown]
	ds_write2_b32 v9, v10, v12 offset1:13
	ds_write_b32 v9, v8 offset:104
	s_and_saveexec_b64 s[4:5], s[0:1]
	s_cbranch_execz .LBB0_18
; %bb.17:
	v_add_u16_e32 v8, 0x75, v4
	v_mul_lo_u16_sdwa v9, v8, s6 dst_sel:DWORD dst_unused:UNUSED_PAD src0_sel:BYTE_0 src1_sel:DWORD
	v_lshrrev_b16_e32 v10, 10, v9
	v_mul_lo_u16_e32 v9, 13, v10
	v_sub_u16_e32 v11, v8, v9
	v_lshlrev_b32_sdwa v8, v22, v11 dst_sel:DWORD dst_unused:UNUSED_PAD src0_sel:DWORD src1_sel:BYTE_0
	global_load_dwordx2 v[8:9], v8, s[8:9]
	v_mad_u32_u24 v10, v10, s11, 0
	v_lshlrev_b32_sdwa v7, v7, v11 dst_sel:DWORD dst_unused:UNUSED_PAD src0_sel:DWORD src1_sel:BYTE_0
	v_add3_u32 v7, v10, v7, v19
	s_waitcnt vmcnt(0)
	v_mul_f16_sdwa v10, v6, v8 dst_sel:DWORD dst_unused:UNUSED_PAD src0_sel:DWORD src1_sel:WORD_1
	v_mul_f16_sdwa v11, v15, v9 dst_sel:DWORD dst_unused:UNUSED_PAD src0_sel:DWORD src1_sel:WORD_1
	;; [unrolled: 1-line block ×4, first 2 shown]
	v_fma_f16 v10, v18, v8, -v10
	v_fma_f16 v11, v17, v9, -v11
	v_fma_f16 v6, v6, v8, v12
	v_fma_f16 v8, v15, v9, v13
	v_add_f16_e32 v9, v10, v11
	v_add_f16_e32 v14, v6, v8
	v_sub_f16_e32 v12, v6, v8
	v_add_f16_e32 v13, v16, v10
	v_sub_f16_e32 v10, v10, v11
	v_add_f16_e32 v6, v5, v6
	v_fma_f16 v9, v9, -0.5, v16
	v_fma_f16 v5, v14, -0.5, v5
	v_add_f16_e32 v11, v13, v11
	v_add_f16_e32 v6, v6, v8
	v_fma_f16 v8, v12, s7, v9
	v_fma_f16 v9, v12, s10, v9
	v_fma_f16 v12, v10, s10, v5
	v_fma_f16 v5, v10, s7, v5
	v_pack_b32_f16 v6, v6, v11
	v_pack_b32_f16 v5, v5, v9
	;; [unrolled: 1-line block ×3, first 2 shown]
	ds_write2_b32 v7, v6, v5 offset1:13
	ds_write_b32 v7, v8 offset:104
.LBB0_18:
	s_or_b64 exec, exec, s[4:5]
	s_waitcnt lgkmcnt(0)
	s_barrier
	s_and_saveexec_b64 s[0:1], vcc
	s_cbranch_execz .LBB0_20
; %bb.19:
	v_mul_u32_u24_e32 v4, 10, v4
	v_lshlrev_b32_e32 v14, 2, v4
	global_load_dwordx4 v[4:7], v14, s[8:9] offset:104
	global_load_dwordx2 v[12:13], v14, s[8:9] offset:136
	global_load_dwordx4 v[8:11], v14, s[8:9] offset:120
	ds_read2_b32 v[14:15], v0 offset0:39 offset1:78
	v_add_u32_e32 v22, 0x400, v0
	ds_read_b32 v24, v20
	ds_read2_b32 v[16:17], v0 offset0:117 offset1:156
	ds_read2_b32 v[18:19], v0 offset0:195 offset1:234
	ds_read2_b32 v[20:21], v22 offset0:95 offset1:134
	ds_read2_b32 v[22:23], v22 offset0:17 offset1:56
	s_waitcnt lgkmcnt(5)
	v_lshrrev_b32_e32 v0, 16, v14
	v_lshrrev_b32_e32 v25, 16, v15
	s_waitcnt lgkmcnt(3)
	v_lshrrev_b32_e32 v26, 16, v16
	s_waitcnt lgkmcnt(1)
	v_lshrrev_b32_e32 v30, 16, v21
	v_lshrrev_b32_e32 v31, 16, v20
	;; [unrolled: 1-line block ×3, first 2 shown]
	s_waitcnt lgkmcnt(0)
	v_lshrrev_b32_e32 v32, 16, v23
	v_lshrrev_b32_e32 v29, 16, v19
	;; [unrolled: 1-line block ×3, first 2 shown]
	s_mov_b32 s0, 0xbbad
	v_lshrrev_b32_e32 v28, 16, v18
	s_movk_i32 s4, 0x3abb
	s_mov_b32 s5, 0xb93d
	s_movk_i32 s8, 0x36a6
	s_mov_b32 s11, 0xb08e
	;; [unrolled: 2-line block ×3, first 2 shown]
	s_movk_i32 s7, 0x3853
	s_movk_i32 s13, 0x3482
	s_mov_b32 s14, 0xbb47
	s_movk_i32 s15, 0x3beb
	s_mov_b32 s1, 0xb482
	s_mov_b32 s6, 0xba0c
	;; [unrolled: 1-line block ×3, first 2 shown]
	s_movk_i32 s10, 0x3b47
	s_waitcnt vmcnt(2)
	v_mul_f16_sdwa v34, v4, v0 dst_sel:DWORD dst_unused:UNUSED_PAD src0_sel:WORD_1 src1_sel:DWORD
	s_waitcnt vmcnt(1)
	v_mul_f16_sdwa v35, v13, v30 dst_sel:DWORD dst_unused:UNUSED_PAD src0_sel:WORD_1 src1_sel:DWORD
	v_mul_f16_sdwa v36, v21, v13 dst_sel:DWORD dst_unused:UNUSED_PAD src0_sel:DWORD src1_sel:WORD_1
	v_mul_f16_sdwa v37, v4, v14 dst_sel:DWORD dst_unused:UNUSED_PAD src0_sel:WORD_1 src1_sel:DWORD
	v_mul_f16_sdwa v38, v5, v25 dst_sel:DWORD dst_unused:UNUSED_PAD src0_sel:WORD_1 src1_sel:DWORD
	;; [unrolled: 1-line block ×4, first 2 shown]
	v_fma_f16 v14, v4, v14, v34
	v_fma_f16 v21, v13, v21, v35
	v_mul_f16_sdwa v40, v20, v12 dst_sel:DWORD dst_unused:UNUSED_PAD src0_sel:DWORD src1_sel:WORD_1
	v_mul_f16_sdwa v42, v6, v26 dst_sel:DWORD dst_unused:UNUSED_PAD src0_sel:WORD_1 src1_sel:DWORD
	s_waitcnt vmcnt(0)
	v_mul_f16_sdwa v43, v11, v32 dst_sel:DWORD dst_unused:UNUSED_PAD src0_sel:WORD_1 src1_sel:DWORD
	v_mul_f16_sdwa v45, v6, v16 dst_sel:DWORD dst_unused:UNUSED_PAD src0_sel:WORD_1 src1_sel:DWORD
	;; [unrolled: 1-line block ×4, first 2 shown]
	v_fma_f16 v13, v13, v30, -v36
	v_fma_f16 v0, v4, v0, -v37
	v_fma_f16 v4, v5, v15, v38
	v_fma_f16 v15, v12, v20, v39
	v_fma_f16 v5, v5, v25, -v41
	v_sub_f16_e32 v25, v14, v21
	v_mul_f16_sdwa v44, v23, v11 dst_sel:DWORD dst_unused:UNUSED_PAD src0_sel:DWORD src1_sel:WORD_1
	v_mul_f16_sdwa v47, v10, v33 dst_sel:DWORD dst_unused:UNUSED_PAD src0_sel:WORD_1 src1_sel:DWORD
	v_mul_f16_sdwa v51, v9, v29 dst_sel:DWORD dst_unused:UNUSED_PAD src0_sel:WORD_1 src1_sel:DWORD
	v_mul_f16_sdwa v52, v19, v9 dst_sel:DWORD dst_unused:UNUSED_PAD src0_sel:DWORD src1_sel:WORD_1
	v_fma_f16 v12, v12, v31, -v40
	v_fma_f16 v16, v6, v16, v42
	v_fma_f16 v20, v11, v23, v43
	v_fma_f16 v6, v6, v26, -v45
	v_fma_f16 v17, v7, v17, v46
	v_fma_f16 v7, v7, v27, -v49
	v_add_f16_e32 v26, v0, v13
	v_sub_f16_e32 v27, v4, v15
	v_mul_f16_e32 v35, 0xb482, v25
	v_mul_f16_sdwa v48, v22, v10 dst_sel:DWORD dst_unused:UNUSED_PAD src0_sel:DWORD src1_sel:WORD_1
	v_mul_f16_sdwa v50, v8, v28 dst_sel:DWORD dst_unused:UNUSED_PAD src0_sel:WORD_1 src1_sel:DWORD
	v_fma_f16 v11, v11, v32, -v44
	v_fma_f16 v22, v10, v22, v47
	v_fma_f16 v19, v9, v19, v51
	v_fma_f16 v9, v9, v29, -v52
	v_add_f16_e32 v29, v5, v12
	v_sub_f16_e32 v30, v16, v20
	v_mul_f16_e32 v36, 0x3853, v27
	v_fma_f16 v40, v26, s0, v35
	v_fma_f16 v10, v10, v33, -v48
	v_fma_f16 v23, v8, v18, v50
	v_add_f16_e32 v31, v6, v11
	v_sub_f16_e32 v32, v17, v22
	v_mul_f16_e32 v37, 0xba0c, v30
	v_fma_f16 v41, v29, s4, v36
	v_add_f16_sdwa v40, v40, v24 dst_sel:DWORD dst_unused:UNUSED_PAD src0_sel:DWORD src1_sel:WORD_1
	v_mul_f16_sdwa v18, v8, v18 dst_sel:DWORD dst_unused:UNUSED_PAD src0_sel:WORD_1 src1_sel:DWORD
	v_add_f16_e32 v33, v7, v10
	v_sub_f16_e32 v34, v23, v19
	v_mul_f16_e32 v38, 0x3b47, v32
	v_fma_f16 v42, v31, s5, v37
	v_add_f16_e32 v40, v40, v41
	v_fma_f16 v8, v8, v28, -v18
	v_mul_f16_e32 v39, 0xbbeb, v34
	v_fma_f16 v43, v33, s8, v38
	v_add_f16_e32 v40, v40, v42
	v_add_f16_e32 v18, v8, v9
	;; [unrolled: 1-line block ×3, first 2 shown]
	v_fma_f16 v28, v18, s11, v39
	v_sub_f16_e32 v41, v0, v13
	v_fma_f16 v35, v26, s0, -v35
	v_add_f16_e32 v28, v40, v28
	v_add_f16_e32 v40, v14, v21
	v_mul_f16_e32 v42, 0xb482, v41
	v_sub_f16_e32 v45, v5, v12
	v_add_f16_sdwa v35, v35, v24 dst_sel:DWORD dst_unused:UNUSED_PAD src0_sel:DWORD src1_sel:WORD_1
	v_fma_f16 v36, v29, s4, -v36
	v_fma_f16 v43, v40, s0, -v42
	v_add_f16_e32 v44, v4, v15
	v_mul_f16_e32 v46, 0x3853, v45
	v_add_f16_e32 v35, v35, v36
	v_fma_f16 v36, v31, s5, -v37
	v_add_f16_e32 v43, v43, v24
	v_fma_f16 v47, v44, s4, -v46
	v_sub_f16_e32 v48, v6, v11
	v_add_f16_e32 v35, v35, v36
	v_fma_f16 v36, v33, s8, -v38
	v_add_f16_e32 v43, v43, v47
	v_add_f16_e32 v47, v16, v20
	v_mul_f16_e32 v49, 0xba0c, v48
	v_add_f16_e32 v35, v35, v36
	v_fma_f16 v36, v18, s11, -v39
	v_fma_f16 v50, v47, s5, -v49
	v_sub_f16_e32 v51, v7, v10
	v_add_f16_e32 v35, v35, v36
	v_fma_f16 v36, v40, s0, v42
	v_add_f16_e32 v43, v43, v50
	v_add_f16_e32 v50, v17, v22
	v_mul_f16_e32 v52, 0x3b47, v51
	v_add_f16_e32 v36, v36, v24
	v_fma_f16 v37, v44, s4, v46
	v_fma_f16 v53, v50, s8, -v52
	v_sub_f16_e32 v54, v8, v9
	v_add_f16_e32 v36, v36, v37
	v_fma_f16 v37, v47, s5, v49
	v_add_f16_e32 v43, v43, v53
	v_add_f16_e32 v53, v23, v19
	v_mul_f16_e32 v55, 0xbbeb, v54
	v_add_f16_e32 v36, v36, v37
	v_fma_f16 v37, v50, s8, v52
	v_add_f16_e32 v36, v36, v37
	v_fma_f16 v37, v53, s11, v55
	v_add_f16_e32 v36, v36, v37
	v_mul_f16_e32 v37, 0xb93d, v26
	v_fma_f16 v38, v25, s12, v37
	v_mul_f16_e32 v39, 0xb08e, v29
	v_add_f16_sdwa v38, v38, v24 dst_sel:DWORD dst_unused:UNUSED_PAD src0_sel:DWORD src1_sel:WORD_1
	v_fma_f16 v42, v27, s9, v39
	v_add_f16_e32 v38, v38, v42
	v_mul_f16_e32 v42, 0x3abb, v31
	v_fma_f16 v46, v30, s7, v42
	v_add_f16_e32 v38, v38, v46
	v_mul_f16_e32 v46, 0xbbad, v33
	;; [unrolled: 3-line block ×3, first 2 shown]
	v_fma_f16 v52, v34, s14, v49
	v_fma_f16 v56, v53, s11, -v55
	v_add_f16_e32 v38, v38, v52
	v_mul_f16_e32 v52, 0xba0c, v41
	v_add_f16_e32 v43, v43, v56
	v_fma_f16 v55, v40, s5, v52
	v_mul_f16_e32 v56, 0x3beb, v45
	v_add_f16_e32 v55, v55, v24
	v_fma_f16 v57, v44, s11, v56
	v_add_f16_e32 v55, v55, v57
	v_mul_f16_e32 v57, 0xb853, v48
	v_fma_f16 v58, v47, s4, v57
	v_add_f16_e32 v55, v55, v58
	v_mul_f16_e32 v58, 0xb482, v51
	v_fma_f16 v59, v50, s0, v58
	v_add_f16_sdwa v0, v0, v24 dst_sel:DWORD dst_unused:UNUSED_PAD src0_sel:DWORD src1_sel:WORD_1
	v_add_f16_e32 v55, v55, v59
	v_mul_f16_e32 v59, 0x3b47, v54
	v_add_f16_e32 v14, v14, v24
	v_add_f16_e32 v0, v0, v5
	v_fma_f16 v60, v53, s8, v59
	v_add_f16_e32 v4, v14, v4
	v_add_f16_e32 v0, v0, v6
	;; [unrolled: 1-line block ×3, first 2 shown]
	v_mul_f16_e32 v60, 0xb08e, v26
	v_add_f16_e32 v4, v4, v16
	v_add_f16_e32 v0, v0, v7
	v_fma_f16 v61, v25, s15, v60
	v_mul_f16_e32 v62, 0xbbad, v29
	v_add_f16_e32 v4, v4, v17
	v_add_f16_e32 v0, v0, v8
	v_add_f16_sdwa v61, v61, v24 dst_sel:DWORD dst_unused:UNUSED_PAD src0_sel:DWORD src1_sel:WORD_1
	v_fma_f16 v63, v27, s1, v62
	v_add_f16_e32 v4, v4, v23
	v_add_f16_e32 v0, v0, v9
	v_add_f16_e32 v61, v61, v63
	v_mul_f16_e32 v63, 0x36a6, v31
	v_add_f16_e32 v4, v4, v19
	v_add_f16_e32 v0, v10, v0
	v_fma_f16 v64, v30, s14, v63
	v_add_f16_e32 v4, v22, v4
	v_add_f16_e32 v0, v11, v0
	;; [unrolled: 1-line block ×3, first 2 shown]
	v_mul_f16_e32 v64, 0x3abb, v33
	v_add_f16_e32 v4, v20, v4
	v_add_f16_e32 v0, v12, v0
	v_fma_f16 v65, v32, s7, v64
	v_add_f16_e32 v4, v15, v4
	v_add_f16_e32 v5, v13, v0
	v_fma_f16 v0, v25, s6, v37
	v_add_f16_e32 v61, v61, v65
	v_mul_f16_e32 v65, 0xb93d, v18
	v_add_f16_e32 v14, v21, v4
	v_add_f16_sdwa v0, v0, v24 dst_sel:DWORD dst_unused:UNUSED_PAD src0_sel:DWORD src1_sel:WORD_1
	v_fma_f16 v4, v27, s15, v39
	v_fma_f16 v66, v34, s12, v65
	v_add_f16_e32 v0, v0, v4
	v_fma_f16 v4, v30, s16, v42
	v_add_f16_e32 v61, v61, v66
	v_mul_f16_e32 v66, 0xbbeb, v41
	v_add_f16_e32 v0, v0, v4
	v_fma_f16 v4, v32, s1, v46
	v_fma_f16 v67, v40, s11, v66
	v_mul_f16_e32 v68, 0x3482, v45
	v_add_f16_e32 v0, v0, v4
	v_fma_f16 v4, v34, s10, v49
	v_add_f16_e32 v67, v67, v24
	v_fma_f16 v69, v44, s0, v68
	v_add_f16_e32 v6, v0, v4
	v_fma_f16 v0, v40, s5, -v52
	v_add_f16_e32 v67, v67, v69
	v_mul_f16_e32 v69, 0x3b47, v48
	v_add_f16_e32 v0, v0, v24
	v_fma_f16 v4, v44, s11, -v56
	v_fma_f16 v70, v47, s8, v69
	v_add_f16_e32 v0, v0, v4
	v_fma_f16 v4, v47, s4, -v57
	v_add_f16_e32 v67, v67, v70
	v_mul_f16_e32 v70, 0xb853, v51
	v_add_f16_e32 v0, v0, v4
	v_fma_f16 v4, v50, s0, -v58
	v_fma_f16 v71, v50, s4, v70
	v_add_f16_e32 v0, v0, v4
	v_fma_f16 v4, v53, s8, -v59
	v_add_f16_e32 v67, v67, v71
	v_mul_f16_e32 v71, 0xba0c, v54
	v_add_f16_e32 v7, v0, v4
	v_fma_f16 v0, v25, s9, v60
	v_fma_f16 v72, v53, s5, v71
	v_add_f16_sdwa v0, v0, v24 dst_sel:DWORD dst_unused:UNUSED_PAD src0_sel:DWORD src1_sel:WORD_1
	v_fma_f16 v4, v27, s13, v62
	v_add_f16_e32 v67, v67, v72
	v_mul_f16_e32 v72, 0x36a6, v26
	v_add_f16_e32 v0, v0, v4
	v_fma_f16 v4, v30, s10, v63
	v_fma_f16 v73, v25, s10, v72
	v_mul_f16_e32 v74, 0xb93d, v29
	v_add_f16_e32 v0, v0, v4
	v_fma_f16 v4, v32, s16, v64
	v_add_f16_sdwa v73, v73, v24 dst_sel:DWORD dst_unused:UNUSED_PAD src0_sel:DWORD src1_sel:WORD_1
	v_fma_f16 v75, v27, s12, v74
	v_add_f16_e32 v0, v0, v4
	v_fma_f16 v4, v34, s6, v65
	v_add_f16_e32 v73, v73, v75
	v_mul_f16_e32 v75, 0xbbad, v31
	v_add_f16_e32 v8, v0, v4
	v_fma_f16 v0, v40, s11, -v66
	v_fma_f16 v76, v30, s1, v75
	v_add_f16_e32 v0, v0, v24
	v_fma_f16 v4, v44, s0, -v68
	v_add_f16_e32 v73, v73, v76
	v_mul_f16_e32 v76, 0xb08e, v33
	v_add_f16_e32 v0, v0, v4
	v_fma_f16 v4, v47, s8, -v69
	v_fma_f16 v77, v32, s9, v76
	v_add_f16_e32 v0, v0, v4
	v_fma_f16 v4, v50, s4, -v70
	v_add_f16_e32 v73, v73, v77
	v_mul_f16_e32 v77, 0x3abb, v18
	v_add_f16_e32 v0, v0, v4
	v_fma_f16 v4, v53, s5, -v71
	v_fma_f16 v78, v34, s16, v77
	v_add_f16_e32 v9, v0, v4
	v_fma_f16 v0, v25, s14, v72
	v_add_f16_e32 v73, v73, v78
	v_mul_f16_e32 v78, 0xbb47, v41
	v_add_f16_sdwa v0, v0, v24 dst_sel:DWORD dst_unused:UNUSED_PAD src0_sel:DWORD src1_sel:WORD_1
	v_fma_f16 v4, v27, s6, v74
	v_fma_f16 v79, v40, s8, v78
	v_mul_f16_e32 v80, 0xba0c, v45
	v_add_f16_e32 v0, v0, v4
	v_fma_f16 v4, v30, s13, v75
	v_add_f16_e32 v79, v79, v24
	v_fma_f16 v81, v44, s5, v80
	;; [unrolled: 2-line block ×3, first 2 shown]
	v_add_f16_e32 v79, v79, v81
	v_mul_f16_e32 v81, 0x3482, v48
	v_add_f16_e32 v0, v0, v4
	v_fma_f16 v4, v34, s7, v77
	v_fma_f16 v82, v47, s0, v81
	v_add_f16_e32 v10, v0, v4
	v_fma_f16 v0, v40, s8, -v78
	v_add_f16_e32 v79, v79, v82
	v_mul_f16_e32 v82, 0x3beb, v51
	v_add_f16_e32 v0, v0, v24
	v_fma_f16 v4, v44, s5, -v80
	v_fma_f16 v83, v50, s11, v82
	v_add_f16_e32 v0, v0, v4
	v_fma_f16 v4, v47, s0, -v81
	v_add_f16_e32 v79, v79, v83
	v_mul_f16_e32 v83, 0x3853, v54
	v_add_f16_e32 v0, v0, v4
	v_fma_f16 v4, v50, s11, -v82
	v_mul_f16_e32 v26, 0x3abb, v26
	v_add_f16_e32 v0, v0, v4
	v_fma_f16 v4, v53, s4, -v83
	v_mul_f16_e32 v29, 0x36a6, v29
	v_add_f16_e32 v11, v0, v4
	v_fma_f16 v0, v25, s16, v26
	v_mul_f16_e32 v31, 0xb08e, v31
	v_add_f16_sdwa v0, v0, v24 dst_sel:DWORD dst_unused:UNUSED_PAD src0_sel:DWORD src1_sel:WORD_1
	v_fma_f16 v4, v27, s14, v29
	v_mul_f16_e32 v33, 0xb93d, v33
	v_add_f16_e32 v0, v0, v4
	v_fma_f16 v4, v30, s9, v31
	v_mul_f16_e32 v18, 0xbbad, v18
	v_add_f16_e32 v0, v0, v4
	;; [unrolled: 3-line block ×3, first 2 shown]
	v_fma_f16 v4, v34, s1, v18
	v_fma_f16 v84, v53, s4, v83
	v_mul_f16_e32 v45, 0xbb47, v45
	v_add_f16_e32 v12, v0, v4
	v_fma_f16 v0, v40, s4, -v41
	v_add_f16_e32 v79, v79, v84
	v_fma_f16 v84, v25, s7, v26
	v_mul_f16_e32 v48, 0xbbeb, v48
	v_add_f16_e32 v0, v0, v24
	v_fma_f16 v4, v44, s8, -v45
	v_add_f16_sdwa v84, v84, v24 dst_sel:DWORD dst_unused:UNUSED_PAD src0_sel:DWORD src1_sel:WORD_1
	v_fma_f16 v85, v27, s10, v29
	v_mul_f16_e32 v51, 0xba0c, v51
	v_add_f16_e32 v0, v0, v4
	v_fma_f16 v4, v47, s11, -v48
	v_add_f16_e32 v84, v84, v85
	v_fma_f16 v85, v30, s15, v31
	v_mul_f16_e32 v54, 0xb482, v54
	v_add_f16_e32 v0, v0, v4
	v_fma_f16 v4, v50, s5, -v51
	v_add_f16_e32 v84, v84, v85
	v_fma_f16 v85, v32, s12, v33
	v_add_f16_e32 v0, v0, v4
	v_fma_f16 v4, v53, s0, -v54
	v_add_f16_e32 v84, v84, v85
	v_fma_f16 v85, v34, s13, v18
	v_add_f16_e32 v13, v0, v4
	v_lshlrev_b64 v[0:1], 2, v[1:2]
	v_add_f16_e32 v84, v84, v85
	v_fma_f16 v85, v40, s4, v41
	v_add_f16_e32 v85, v85, v24
	v_fma_f16 v86, v44, s8, v45
	v_mov_b32_e32 v4, 0
	v_mov_b32_e32 v2, s3
	v_add_co_u32_e32 v15, vcc, s2, v0
	v_add_f16_e32 v85, v85, v86
	v_fma_f16 v86, v47, s11, v48
	v_addc_co_u32_e32 v2, vcc, v2, v1, vcc
	v_lshlrev_b64 v[0:1], 2, v[3:4]
	v_add_f16_e32 v85, v85, v86
	v_fma_f16 v86, v50, s5, v51
	v_add_f16_e32 v85, v85, v86
	v_fma_f16 v86, v53, s0, v54
	v_add_co_u32_e32 v0, vcc, v15, v0
	v_add_f16_e32 v85, v85, v86
	v_addc_co_u32_e32 v1, vcc, v2, v1, vcc
	v_pack_b32_f16 v2, v14, v5
	global_store_dword v[0:1], v2, off
	v_pack_b32_f16 v2, v85, v84
	global_store_dword v[0:1], v2, off offset:156
	v_pack_b32_f16 v2, v79, v73
	global_store_dword v[0:1], v2, off offset:312
	;; [unrolled: 2-line block ×10, first 2 shown]
.LBB0_20:
	s_endpgm
	.section	.rodata,"a",@progbits
	.p2align	6, 0x0
	.amdhsa_kernel fft_rtc_back_len429_factors_13_3_11_wgs_117_tpt_39_half_ip_CI_unitstride_sbrr_dirReg
		.amdhsa_group_segment_fixed_size 0
		.amdhsa_private_segment_fixed_size 0
		.amdhsa_kernarg_size 88
		.amdhsa_user_sgpr_count 6
		.amdhsa_user_sgpr_private_segment_buffer 1
		.amdhsa_user_sgpr_dispatch_ptr 0
		.amdhsa_user_sgpr_queue_ptr 0
		.amdhsa_user_sgpr_kernarg_segment_ptr 1
		.amdhsa_user_sgpr_dispatch_id 0
		.amdhsa_user_sgpr_flat_scratch_init 0
		.amdhsa_user_sgpr_private_segment_size 0
		.amdhsa_uses_dynamic_stack 0
		.amdhsa_system_sgpr_private_segment_wavefront_offset 0
		.amdhsa_system_sgpr_workgroup_id_x 1
		.amdhsa_system_sgpr_workgroup_id_y 0
		.amdhsa_system_sgpr_workgroup_id_z 0
		.amdhsa_system_sgpr_workgroup_info 0
		.amdhsa_system_vgpr_workitem_id 0
		.amdhsa_next_free_vgpr 126
		.amdhsa_next_free_sgpr 22
		.amdhsa_reserve_vcc 1
		.amdhsa_reserve_flat_scratch 0
		.amdhsa_float_round_mode_32 0
		.amdhsa_float_round_mode_16_64 0
		.amdhsa_float_denorm_mode_32 3
		.amdhsa_float_denorm_mode_16_64 3
		.amdhsa_dx10_clamp 1
		.amdhsa_ieee_mode 1
		.amdhsa_fp16_overflow 0
		.amdhsa_exception_fp_ieee_invalid_op 0
		.amdhsa_exception_fp_denorm_src 0
		.amdhsa_exception_fp_ieee_div_zero 0
		.amdhsa_exception_fp_ieee_overflow 0
		.amdhsa_exception_fp_ieee_underflow 0
		.amdhsa_exception_fp_ieee_inexact 0
		.amdhsa_exception_int_div_zero 0
	.end_amdhsa_kernel
	.text
.Lfunc_end0:
	.size	fft_rtc_back_len429_factors_13_3_11_wgs_117_tpt_39_half_ip_CI_unitstride_sbrr_dirReg, .Lfunc_end0-fft_rtc_back_len429_factors_13_3_11_wgs_117_tpt_39_half_ip_CI_unitstride_sbrr_dirReg
                                        ; -- End function
	.section	.AMDGPU.csdata,"",@progbits
; Kernel info:
; codeLenInByte = 8412
; NumSgprs: 26
; NumVgprs: 126
; ScratchSize: 0
; MemoryBound: 0
; FloatMode: 240
; IeeeMode: 1
; LDSByteSize: 0 bytes/workgroup (compile time only)
; SGPRBlocks: 3
; VGPRBlocks: 31
; NumSGPRsForWavesPerEU: 26
; NumVGPRsForWavesPerEU: 126
; Occupancy: 2
; WaveLimiterHint : 1
; COMPUTE_PGM_RSRC2:SCRATCH_EN: 0
; COMPUTE_PGM_RSRC2:USER_SGPR: 6
; COMPUTE_PGM_RSRC2:TRAP_HANDLER: 0
; COMPUTE_PGM_RSRC2:TGID_X_EN: 1
; COMPUTE_PGM_RSRC2:TGID_Y_EN: 0
; COMPUTE_PGM_RSRC2:TGID_Z_EN: 0
; COMPUTE_PGM_RSRC2:TIDIG_COMP_CNT: 0
	.type	__hip_cuid_35520676bc997aaa,@object ; @__hip_cuid_35520676bc997aaa
	.section	.bss,"aw",@nobits
	.globl	__hip_cuid_35520676bc997aaa
__hip_cuid_35520676bc997aaa:
	.byte	0                               ; 0x0
	.size	__hip_cuid_35520676bc997aaa, 1

	.ident	"AMD clang version 19.0.0git (https://github.com/RadeonOpenCompute/llvm-project roc-6.4.0 25133 c7fe45cf4b819c5991fe208aaa96edf142730f1d)"
	.section	".note.GNU-stack","",@progbits
	.addrsig
	.addrsig_sym __hip_cuid_35520676bc997aaa
	.amdgpu_metadata
---
amdhsa.kernels:
  - .args:
      - .actual_access:  read_only
        .address_space:  global
        .offset:         0
        .size:           8
        .value_kind:     global_buffer
      - .offset:         8
        .size:           8
        .value_kind:     by_value
      - .actual_access:  read_only
        .address_space:  global
        .offset:         16
        .size:           8
        .value_kind:     global_buffer
      - .actual_access:  read_only
        .address_space:  global
        .offset:         24
        .size:           8
        .value_kind:     global_buffer
      - .offset:         32
        .size:           8
        .value_kind:     by_value
      - .actual_access:  read_only
        .address_space:  global
        .offset:         40
        .size:           8
        .value_kind:     global_buffer
      - .actual_access:  read_only
        .address_space:  global
        .offset:         48
        .size:           8
        .value_kind:     global_buffer
      - .offset:         56
        .size:           4
        .value_kind:     by_value
      - .actual_access:  read_only
        .address_space:  global
        .offset:         64
        .size:           8
        .value_kind:     global_buffer
      - .actual_access:  read_only
        .address_space:  global
        .offset:         72
        .size:           8
        .value_kind:     global_buffer
      - .address_space:  global
        .offset:         80
        .size:           8
        .value_kind:     global_buffer
    .group_segment_fixed_size: 0
    .kernarg_segment_align: 8
    .kernarg_segment_size: 88
    .language:       OpenCL C
    .language_version:
      - 2
      - 0
    .max_flat_workgroup_size: 117
    .name:           fft_rtc_back_len429_factors_13_3_11_wgs_117_tpt_39_half_ip_CI_unitstride_sbrr_dirReg
    .private_segment_fixed_size: 0
    .sgpr_count:     26
    .sgpr_spill_count: 0
    .symbol:         fft_rtc_back_len429_factors_13_3_11_wgs_117_tpt_39_half_ip_CI_unitstride_sbrr_dirReg.kd
    .uniform_work_group_size: 1
    .uses_dynamic_stack: false
    .vgpr_count:     126
    .vgpr_spill_count: 0
    .wavefront_size: 64
amdhsa.target:   amdgcn-amd-amdhsa--gfx906
amdhsa.version:
  - 1
  - 2
...

	.end_amdgpu_metadata
